;; amdgpu-corpus repo=ROCm/rocFFT kind=compiled arch=gfx1201 opt=O3
	.text
	.amdgcn_target "amdgcn-amd-amdhsa--gfx1201"
	.amdhsa_code_object_version 6
	.protected	fft_rtc_back_len169_factors_13_13_wgs_156_tpt_13_dp_op_CI_CI_sbrc_aligned_dirReg ; -- Begin function fft_rtc_back_len169_factors_13_13_wgs_156_tpt_13_dp_op_CI_CI_sbrc_aligned_dirReg
	.globl	fft_rtc_back_len169_factors_13_13_wgs_156_tpt_13_dp_op_CI_CI_sbrc_aligned_dirReg
	.p2align	8
	.type	fft_rtc_back_len169_factors_13_13_wgs_156_tpt_13_dp_op_CI_CI_sbrc_aligned_dirReg,@function
fft_rtc_back_len169_factors_13_13_wgs_156_tpt_13_dp_op_CI_CI_sbrc_aligned_dirReg: ; @fft_rtc_back_len169_factors_13_13_wgs_156_tpt_13_dp_op_CI_CI_sbrc_aligned_dirReg
; %bb.0:
	s_clause 0x1
	s_load_b256 s[4:11], s[0:1], 0x0
	s_load_b64 s[22:23], s[0:1], 0x20
	s_mov_b32 s27, 0
	s_mov_b64 s[34:35], 2
	s_mov_b32 s21, s27
	s_wait_kmcnt 0x0
	s_load_b32 s2, s[8:9], 0x8
	s_load_b128 s[16:19], s[10:11], 0x0
	s_load_b128 s[12:15], s[22:23], 0x0
	s_wait_kmcnt 0x0
	s_add_co_i32 s2, s2, -1
	s_delay_alu instid0(SALU_CYCLE_1) | instskip(NEXT) | instid1(SALU_CYCLE_1)
	s_mul_hi_u32 s2, s2, 0xaaaaaaab
	s_lshr_b32 s2, s2, 3
	s_delay_alu instid0(SALU_CYCLE_1) | instskip(NEXT) | instid1(SALU_CYCLE_1)
	s_add_co_i32 s33, s2, 1
	s_cvt_f32_u32 s2, s33
	s_sub_co_i32 s3, 0, s33
	s_delay_alu instid0(SALU_CYCLE_2) | instskip(NEXT) | instid1(TRANS32_DEP_1)
	v_rcp_iflag_f32_e32 v1, s2
	v_readfirstlane_b32 s2, v1
	s_delay_alu instid0(VALU_DEP_1) | instskip(SKIP_1) | instid1(SALU_CYCLE_2)
	s_mul_f32 s2, s2, 0x4f7ffffe
	s_wait_alu 0xfffe
	s_cvt_u32_f32 s2, s2
	s_wait_alu 0xfffe
	s_delay_alu instid0(SALU_CYCLE_2)
	s_mul_i32 s3, s3, s2
	s_wait_alu 0xfffe
	s_mul_hi_u32 s3, s2, s3
	s_wait_alu 0xfffe
	s_add_co_i32 s2, s2, s3
	s_wait_alu 0xfffe
	s_mul_hi_u32 s3, ttmp9, s2
	s_wait_alu 0xfffe
	s_mul_i32 s2, s3, s33
	s_add_co_i32 s19, s3, 1
	s_wait_alu 0xfffe
	s_sub_co_i32 s15, ttmp9, s2
	s_mov_b32 s2, 3
	s_sub_co_i32 s20, s15, s33
	s_cmp_ge_u32 s15, s33
	s_cselect_b32 s3, s19, s3
	s_cselect_b32 s15, s20, s15
	s_wait_alu 0xfffe
	s_add_co_i32 s19, s3, 1
	s_cmp_ge_u32 s15, s33
	s_cselect_b32 s28, s19, s3
	v_cmp_gt_u64_e64 s3, s[6:7], 2
	s_mul_i32 s15, s28, s33
	s_delay_alu instid0(SALU_CYCLE_1) | instskip(NEXT) | instid1(SALU_CYCLE_1)
	s_sub_co_i32 s15, ttmp9, s15
	s_mul_i32 s20, s15, 12
	s_delay_alu instid0(VALU_DEP_1)
	s_and_b32 vcc_lo, exec_lo, s3
	s_mul_i32 s26, s20, s18
	s_mul_u64 s[20:21], s[12:13], s[20:21]
	s_cbranch_vccz .LBB0_8
; %bb.1:
	s_mov_b32 s30, ttmp9
	s_mov_b32 s31, s27
	s_mov_b64 s[24:25], s[26:27]
	s_mov_b32 s26, s28
.LBB0_2:                                ; =>This Inner Loop Header: Depth=1
	s_lshl_b64 s[34:35], s[34:35], 3
	s_mov_b32 s36, s27
	s_add_nc_u64 s[28:29], s[8:9], s[34:35]
	s_load_b64 s[28:29], s[28:29], 0x0
	s_wait_kmcnt 0x0
	s_mov_b32 s37, s29
	s_delay_alu instid0(SALU_CYCLE_1)
	s_cmp_lg_u64 s[36:37], 0
	s_cbranch_scc0 .LBB0_7
; %bb.3:                                ;   in Loop: Header=BB0_2 Depth=1
	s_cvt_f32_u32 s3, s28
	s_cvt_f32_u32 s15, s29
	s_sub_nc_u64 s[40:41], 0, s[28:29]
	s_mov_b32 s37, 0
	s_mov_b32 s45, s27
	s_wait_alu 0xfffe
	s_fmamk_f32 s3, s15, 0x4f800000, s3
	s_wait_alu 0xfffe
	s_delay_alu instid0(SALU_CYCLE_2) | instskip(NEXT) | instid1(TRANS32_DEP_1)
	v_s_rcp_f32 s3, s3
	s_mul_f32 s3, s3, 0x5f7ffffc
	s_wait_alu 0xfffe
	s_delay_alu instid0(SALU_CYCLE_2) | instskip(NEXT) | instid1(SALU_CYCLE_3)
	s_mul_f32 s15, s3, 0x2f800000
	s_trunc_f32 s15, s15
	s_delay_alu instid0(SALU_CYCLE_3) | instskip(SKIP_2) | instid1(SALU_CYCLE_1)
	s_fmamk_f32 s3, s15, 0xcf800000, s3
	s_cvt_u32_f32 s39, s15
	s_wait_alu 0xfffe
	s_cvt_u32_f32 s38, s3
	s_wait_alu 0xfffe
	s_delay_alu instid0(SALU_CYCLE_2)
	s_mul_u64 s[42:43], s[40:41], s[38:39]
	s_wait_alu 0xfffe
	s_mul_hi_u32 s47, s38, s43
	s_mul_i32 s46, s38, s43
	s_mul_hi_u32 s36, s38, s42
	s_mul_i32 s15, s39, s42
	s_add_nc_u64 s[46:47], s[36:37], s[46:47]
	s_mul_hi_u32 s3, s39, s42
	s_mul_hi_u32 s19, s39, s43
	s_add_co_u32 s15, s46, s15
	s_wait_alu 0xfffe
	s_add_co_ci_u32 s44, s47, s3
	s_mul_i32 s42, s39, s43
	s_add_co_ci_u32 s43, s19, 0
	s_wait_alu 0xfffe
	s_add_nc_u64 s[42:43], s[44:45], s[42:43]
	s_wait_alu 0xfffe
	v_add_co_u32 v1, s3, s38, s42
	s_delay_alu instid0(VALU_DEP_1) | instskip(SKIP_1) | instid1(VALU_DEP_1)
	s_cmp_lg_u32 s3, 0
	s_add_co_ci_u32 s39, s39, s43
	v_readfirstlane_b32 s38, v1
	s_mov_b32 s43, s27
	s_wait_alu 0xfffe
	s_delay_alu instid0(VALU_DEP_1)
	s_mul_u64 s[40:41], s[40:41], s[38:39]
	s_wait_alu 0xfffe
	s_mul_hi_u32 s45, s38, s41
	s_mul_i32 s44, s38, s41
	s_mul_hi_u32 s36, s38, s40
	s_mul_i32 s15, s39, s40
	s_add_nc_u64 s[44:45], s[36:37], s[44:45]
	s_mul_hi_u32 s3, s39, s40
	s_mul_hi_u32 s19, s39, s41
	s_add_co_u32 s15, s44, s15
	s_wait_alu 0xfffe
	s_add_co_ci_u32 s42, s45, s3
	s_mul_i32 s40, s39, s41
	s_add_co_ci_u32 s41, s19, 0
	s_wait_alu 0xfffe
	s_add_nc_u64 s[40:41], s[42:43], s[40:41]
	s_mov_b32 s42, s27
	s_wait_alu 0xfffe
	v_add_co_u32 v1, s3, v1, s40
	s_delay_alu instid0(VALU_DEP_1) | instskip(SKIP_1) | instid1(VALU_DEP_1)
	s_cmp_lg_u32 s3, 0
	s_add_co_ci_u32 s15, s39, s41
	v_readfirstlane_b32 s3, v1
	s_mul_hi_u32 s41, s26, s15
	s_mul_i32 s40, s26, s15
	s_mov_b32 s39, s27
	s_delay_alu instid0(VALU_DEP_1)
	s_mul_hi_u32 s36, s26, s3
	s_wait_alu 0xfffe
	s_add_nc_u64 s[40:41], s[36:37], s[40:41]
	s_wait_alu 0xfffe
	s_mov_b32 s38, s41
	s_wait_alu 0xfffe
	s_or_b64 s[38:39], s[38:39], s[42:43]
	s_mov_b32 s38, s41
	s_wait_alu 0xfffe
	s_mul_u64 s[42:43], s[28:29], s[38:39]
	s_add_nc_u64 s[44:45], s[38:39], 1
	s_wait_alu 0xfffe
	v_sub_co_u32 v1, s3, s26, s42
	s_sub_co_i32 s15, 0, s43
	s_cmp_lg_u32 s3, 0
	s_add_nc_u64 s[46:47], s[38:39], 2
	s_delay_alu instid0(VALU_DEP_1) | instskip(SKIP_2) | instid1(VALU_DEP_1)
	v_sub_co_u32 v2, s19, v1, s28
	s_sub_co_ci_u32 s15, s15, s29
	s_cmp_lg_u32 s19, 0
	v_readfirstlane_b32 s19, v2
	s_sub_co_ci_u32 s15, s15, 0
	s_delay_alu instid0(SALU_CYCLE_1) | instskip(SKIP_1) | instid1(VALU_DEP_1)
	s_cmp_ge_u32 s15, s29
	s_cselect_b32 s36, -1, 0
	s_cmp_ge_u32 s19, s28
	s_cselect_b32 s19, -1, 0
	s_cmp_eq_u32 s15, s29
	s_cselect_b32 s15, s19, s36
	s_delay_alu instid0(SALU_CYCLE_1)
	s_cmp_lg_u32 s15, 0
	s_cselect_b32 s15, s46, s44
	s_cselect_b32 s19, s47, s45
	s_cmp_lg_u32 s3, 0
	v_readfirstlane_b32 s3, v1
	s_sub_co_ci_u32 s36, 0, s43
	s_delay_alu instid0(SALU_CYCLE_1) | instskip(SKIP_1) | instid1(VALU_DEP_1)
	s_cmp_ge_u32 s36, s29
	s_cselect_b32 s38, -1, 0
	s_cmp_ge_u32 s3, s28
	s_cselect_b32 s3, -1, 0
	s_cmp_eq_u32 s36, s29
	s_wait_alu 0xfffe
	s_cselect_b32 s3, s3, s38
	s_wait_alu 0xfffe
	s_cmp_lg_u32 s3, 0
	s_cselect_b32 s39, s19, s39
	s_cselect_b32 s38, s15, s41
	s_cbranch_execnz .LBB0_5
.LBB0_4:                                ;   in Loop: Header=BB0_2 Depth=1
	v_cvt_f32_u32_e32 v1, s28
	s_sub_co_i32 s15, 0, s28
	s_mov_b32 s39, s27
	s_delay_alu instid0(VALU_DEP_1) | instskip(NEXT) | instid1(TRANS32_DEP_1)
	v_rcp_iflag_f32_e32 v1, v1
	v_mul_f32_e32 v1, 0x4f7ffffe, v1
	s_delay_alu instid0(VALU_DEP_1) | instskip(NEXT) | instid1(VALU_DEP_1)
	v_cvt_u32_f32_e32 v1, v1
	v_readfirstlane_b32 s3, v1
	s_delay_alu instid0(VALU_DEP_1) | instskip(NEXT) | instid1(SALU_CYCLE_1)
	s_mul_i32 s15, s15, s3
	s_mul_hi_u32 s15, s3, s15
	s_delay_alu instid0(SALU_CYCLE_1)
	s_add_co_i32 s3, s3, s15
	s_wait_alu 0xfffe
	s_mul_hi_u32 s3, s26, s3
	s_wait_alu 0xfffe
	s_mul_i32 s15, s3, s28
	s_add_co_i32 s19, s3, 1
	s_sub_co_i32 s15, s26, s15
	s_delay_alu instid0(SALU_CYCLE_1)
	s_sub_co_i32 s36, s15, s28
	s_cmp_ge_u32 s15, s28
	s_cselect_b32 s3, s19, s3
	s_cselect_b32 s15, s36, s15
	s_wait_alu 0xfffe
	s_add_co_i32 s19, s3, 1
	s_cmp_ge_u32 s15, s28
	s_cselect_b32 s38, s19, s3
.LBB0_5:                                ;   in Loop: Header=BB0_2 Depth=1
	s_add_nc_u64 s[36:37], s[10:11], s[34:35]
	s_add_nc_u64 s[34:35], s[22:23], s[34:35]
	s_load_b64 s[36:37], s[36:37], 0x0
	s_load_b64 s[40:41], s[34:35], 0x0
	s_mov_b32 s3, s27
	s_mul_u64 s[34:35], s[38:39], s[28:29]
	s_wait_alu 0xfffe
	v_cmp_ge_u64_e64 s15, s[2:3], s[6:7]
	s_mul_i32 s33, s33, s28
	s_sub_nc_u64 s[28:29], s[26:27], s[34:35]
	s_mov_b64 s[34:35], s[2:3]
	s_add_co_i32 s2, s2, 1
	s_delay_alu instid0(VALU_DEP_1)
	s_and_b32 vcc_lo, exec_lo, s15
	s_wait_kmcnt 0x0
	s_wait_alu 0xfffe
	s_mul_u64 s[36:37], s[36:37], s[28:29]
	s_mul_u64 s[28:29], s[40:41], s[28:29]
	s_add_nc_u64 s[24:25], s[36:37], s[24:25]
	s_wait_alu 0xfffe
	s_add_nc_u64 s[20:21], s[28:29], s[20:21]
	s_cbranch_vccnz .LBB0_9
; %bb.6:                                ;   in Loop: Header=BB0_2 Depth=1
	s_mov_b32 s26, s38
	s_branch .LBB0_2
.LBB0_7:                                ;   in Loop: Header=BB0_2 Depth=1
                                        ; implicit-def: $sgpr38_sgpr39
	s_branch .LBB0_4
.LBB0_8:
	s_mov_b64 s[24:25], s[26:27]
	s_branch .LBB0_10
.LBB0_9:
	s_cvt_f32_u32 s2, s33
	s_sub_co_i32 s3, 0, s33
	s_wait_alu 0xfffe
	s_delay_alu instid0(SALU_CYCLE_1) | instskip(NEXT) | instid1(TRANS32_DEP_1)
	v_rcp_iflag_f32_e32 v1, s2
	v_readfirstlane_b32 s2, v1
	s_delay_alu instid0(VALU_DEP_1) | instskip(SKIP_1) | instid1(SALU_CYCLE_2)
	s_mul_f32 s2, s2, 0x4f7ffffe
	s_wait_alu 0xfffe
	s_cvt_u32_f32 s2, s2
	s_wait_alu 0xfffe
	s_delay_alu instid0(SALU_CYCLE_2)
	s_mul_i32 s3, s3, s2
	s_wait_alu 0xfffe
	s_mul_hi_u32 s8, s2, s3
	s_mov_b32 s3, 0
	s_add_co_i32 s2, s2, s8
	s_wait_alu 0xfffe
	s_mul_u64 s[2:3], s[30:31], s[2:3]
	s_wait_alu 0xfffe
	s_mul_i32 s2, s3, s33
	s_add_co_i32 s8, s3, 1
	s_wait_alu 0xfffe
	s_sub_co_i32 s2, ttmp9, s2
	s_wait_alu 0xfffe
	s_sub_co_i32 s9, s2, s33
	s_cmp_ge_u32 s2, s33
	s_cselect_b32 s3, s8, s3
	s_cselect_b32 s2, s9, s2
	s_wait_alu 0xfffe
	s_add_co_i32 s8, s3, 1
	s_cmp_ge_u32 s2, s33
	s_cselect_b32 s28, s8, s3
.LBB0_10:
	v_add_nc_u16 v5, v0, 0x9c
	v_mul_u32_u24_e32 v1, 0x184, v0
	v_add_nc_u16 v6, v0, 0x138
	v_add_nc_u16 v14, v0, 0x1d4
	s_lshl_b64 s[6:7], s[6:7], 3
	v_and_b32_e32 v2, 0xffff, v5
	v_lshrrev_b32_e32 v1, 16, v1
	v_and_b32_e32 v4, 0xffff, v6
	v_and_b32_e32 v8, 0xffff, v14
	s_wait_alu 0xfffe
	s_add_nc_u64 s[10:11], s[10:11], s[6:7]
	v_mul_u32_u24_e32 v2, 0x184, v2
	v_mul_lo_u16 v3, 0xa9, v1
	s_load_b64 s[10:11], s[10:11], 0x0
	s_load_b128 s[0:3], s[0:1], 0x58
	v_mul_lo_u32 v53, s18, v1
	v_lshrrev_b32_e32 v2, 16, v2
	v_sub_nc_u16 v55, v0, v3
	v_mul_u32_u24_e32 v3, 0x184, v4
	v_mov_b32_e32 v54, 0
	s_mov_b32 s29, 0
	v_mul_lo_u16 v7, 0xa9, v2
	v_and_b32_e32 v9, 0xffff, v55
	v_lshrrev_b32_e32 v64, 16, v3
	s_lshl_b64 s[8:9], s[24:25], 4
	v_add_nc_u16 v15, v0, 0x270
	v_sub_nc_u16 v65, v5, v7
	v_mul_u32_u24_e32 v5, 0x184, v8
	v_mul_lo_u16 v7, 0xa9, v64
	v_mad_co_u64_u32 v[3:4], null, s16, v9, 0
	s_delay_alu instid0(VALU_DEP_4) | instskip(NEXT) | instid1(VALU_DEP_4)
	v_and_b32_e32 v12, 0xffff, v65
	v_lshrrev_b32_e32 v66, 16, v5
	s_delay_alu instid0(VALU_DEP_4)
	v_sub_nc_u16 v67, v6, v7
	v_lshlrev_b64_e32 v[7:8], 4, v[53:54]
	s_wait_kmcnt 0x0
	s_wait_alu 0xfffe
	s_mul_u64 s[10:11], s[10:11], s[28:29]
	v_mad_co_u64_u32 v[5:6], null, s16, v12, 0
	s_lshl_b64 s[10:11], s[10:11], 4
	v_mul_lo_u16 v16, 0xa9, v66
	s_add_nc_u64 s[0:1], s[0:1], s[10:11]
	v_mul_lo_u32 v53, s18, v2
	s_add_nc_u64 s[0:1], s[0:1], s[8:9]
	v_add_nc_u16 v24, v0, 0x3a8
	s_delay_alu instid0(VALU_DEP_4)
	v_mad_co_u64_u32 v[9:10], null, s17, v9, v[4:5]
	v_and_b32_e32 v17, 0xffff, v67
	v_mad_co_u64_u32 v[12:13], null, s17, v12, v[6:7]
	v_sub_nc_u16 v68, v14, v16
	v_lshlrev_b64_e32 v[13:14], 4, v[53:54]
	v_mul_lo_u32 v53, s18, v64
	v_mov_b32_e32 v4, v9
	v_mad_co_u64_u32 v[10:11], null, s16, v17, 0
	v_mov_b32_e32 v6, v12
	v_add_nc_u16 v26, v0, 0x444
	s_delay_alu instid0(VALU_DEP_4)
	v_lshlrev_b64_e32 v[3:4], 4, v[3:4]
	v_add_nc_u16 v32, v0, 0x4e0
	v_add_nc_u16 v40, v0, 0x618
	;; [unrolled: 1-line block ×3, first 2 shown]
	v_mov_b32_e32 v9, v11
	v_add_nc_u16 v43, v0, 0x750
	v_add_co_u32 v11, vcc_lo, s0, v3
	v_add_co_ci_u32_e32 v12, vcc_lo, s1, v4, vcc_lo
	v_lshlrev_b64_e32 v[3:4], 4, v[5:6]
	s_delay_alu instid0(VALU_DEP_3) | instskip(SKIP_4) | instid1(VALU_DEP_3)
	v_add_co_u32 v5, vcc_lo, v11, v7
	v_and_b32_e32 v11, 0xffff, v15
	s_wait_alu 0xfffd
	v_add_co_ci_u32_e32 v6, vcc_lo, v12, v8, vcc_lo
	v_mad_co_u64_u32 v[7:8], null, s17, v17, v[9:10]
	v_mul_u32_u24_e32 v12, 0x184, v11
	v_add_co_u32 v3, vcc_lo, s0, v3
	s_wait_alu 0xfffd
	v_add_co_ci_u32_e32 v4, vcc_lo, s1, v4, vcc_lo
	s_delay_alu instid0(VALU_DEP_3)
	v_lshrrev_b32_e32 v69, 16, v12
	v_mov_b32_e32 v11, v7
	v_add_co_u32 v12, vcc_lo, v3, v13
	s_wait_alu 0xfffd
	v_add_co_ci_u32_e32 v13, vcc_lo, v4, v14, vcc_lo
	v_mul_lo_u16 v7, 0xa9, v69
	v_and_b32_e32 v33, 0xffff, v32
	v_and_b32_e32 v45, 0xffff, v43
	s_mov_b32 s8, 0x1ea71119
	s_mov_b32 s26, 0x4267c47c
	v_sub_nc_u16 v70, v15, v7
	s_mov_b32 s9, 0x3fe22d96
	s_mov_b32 s34, 0x2ef20147
	;; [unrolled: 1-line block ×4, first 2 shown]
	v_and_b32_e32 v18, 0xffff, v70
	s_mov_b32 s27, 0xbfddbe06
	s_mov_b32 s35, 0xbfedeba7
	;; [unrolled: 1-line block ×4, first 2 shown]
	v_mad_co_u64_u32 v[19:20], null, s16, v18, 0
	v_and_b32_e32 v16, 0xffff, v68
	s_mov_b32 s38, 0xb2365da1
	s_mov_b32 s39, 0xbfd6b1d8
	s_mov_b32 s42, 0xd0032e0c
	s_mov_b32 s43, 0xbfe7f3cc
	v_mad_co_u64_u32 v[8:9], null, s16, v16, 0
	s_mov_b32 s44, 0x93053d00
	s_mov_b32 s45, 0xbfef11f4
	;; [unrolled: 1-line block ×6, first 2 shown]
	s_delay_alu instid0(VALU_DEP_1)
	v_mov_b32_e32 v3, v9
	v_lshlrev_b64_e32 v[9:10], 4, v[10:11]
	v_add_nc_u16 v11, v0, 0x30c
	s_mov_b32 s47, 0x3fcea1e5
	s_mov_b32 s40, s34
	v_mad_co_u64_u32 v[3:4], null, s17, v16, v[3:4]
	s_delay_alu instid0(VALU_DEP_2) | instskip(SKIP_3) | instid1(VALU_DEP_3)
	v_and_b32_e32 v7, 0xffff, v11
	v_add_co_u32 v14, vcc_lo, s0, v9
	s_wait_alu 0xfffd
	v_add_co_ci_u32_e32 v10, vcc_lo, s1, v10, vcc_lo
	v_mul_u32_u24_e32 v15, 0xc1f, v7
	v_mov_b32_e32 v9, v3
	v_lshlrev_b64_e32 v[3:4], 4, v[53:54]
	v_mul_lo_u32 v53, s18, v66
	s_mov_b32 s48, s30
	v_lshrrev_b32_e32 v71, 19, v15
	v_lshlrev_b64_e32 v[7:8], 4, v[8:9]
	s_mov_b32 s46, s36
	v_add_co_u32 v14, vcc_lo, v14, v3
	s_wait_alu 0xfffd
	v_add_co_ci_u32_e32 v15, vcc_lo, v10, v4, vcc_lo
	v_lshlrev_b64_e32 v[3:4], 4, v[53:54]
	v_add_co_u32 v10, vcc_lo, s0, v7
	s_wait_alu 0xfffd
	v_add_co_ci_u32_e32 v8, vcc_lo, s1, v8, vcc_lo
	v_mul_lo_u16 v9, 0xa9, v71
	s_delay_alu instid0(VALU_DEP_3) | instskip(SKIP_2) | instid1(VALU_DEP_4)
	v_add_co_u32 v16, vcc_lo, v10, v3
	v_and_b32_e32 v3, 0xffff, v24
	v_mov_b32_e32 v7, v20
	v_sub_nc_u16 v72, v11, v9
	v_mul_lo_u32 v53, s18, v69
	s_wait_alu 0xfffd
	v_add_co_ci_u32_e32 v17, vcc_lo, v8, v4, vcc_lo
	v_mul_u32_u24_e32 v25, 0xc1f, v3
	v_and_b32_e32 v23, 0xffff, v72
	v_mad_co_u64_u32 v[20:21], null, s17, v18, v[7:8]
	s_clause 0x3
	global_load_b128 v[3:6], v[5:6], off
	global_load_b128 v[7:10], v[12:13], off
	;; [unrolled: 1-line block ×4, first 2 shown]
	v_lshrrev_b32_e32 v73, 19, v25
	v_and_b32_e32 v25, 0xffff, v26
	v_mad_co_u64_u32 v[21:22], null, s16, v23, 0
	s_delay_alu instid0(VALU_DEP_3) | instskip(NEXT) | instid1(VALU_DEP_3)
	v_mul_lo_u16 v27, 0xa9, v73
	v_mul_u32_u24_e32 v25, 0xc1f, v25
	v_lshlrev_b64_e32 v[19:20], 4, v[19:20]
	s_delay_alu instid0(VALU_DEP_3) | instskip(NEXT) | instid1(VALU_DEP_3)
	v_sub_nc_u16 v74, v24, v27
	v_lshrrev_b32_e32 v75, 19, v25
	v_mad_co_u64_u32 v[22:23], null, s17, v23, v[22:23]
	s_delay_alu instid0(VALU_DEP_4) | instskip(NEXT) | instid1(VALU_DEP_3)
	v_add_co_u32 v23, vcc_lo, s0, v19
	v_mul_lo_u16 v29, 0xa9, v75
	v_and_b32_e32 v25, 0xffff, v74
	s_wait_alu 0xfffd
	v_add_co_ci_u32_e32 v24, vcc_lo, s1, v20, vcc_lo
	v_lshlrev_b64_e32 v[19:20], 4, v[53:54]
	v_sub_nc_u16 v76, v26, v29
	v_mad_co_u64_u32 v[27:28], null, s16, v25, 0
	v_mul_lo_u32 v53, s18, v71
	v_lshlrev_b64_e32 v[21:22], 4, v[21:22]
	s_delay_alu instid0(VALU_DEP_4) | instskip(SKIP_3) | instid1(VALU_DEP_3)
	v_and_b32_e32 v31, 0xffff, v76
	v_add_co_u32 v19, vcc_lo, v23, v19
	s_wait_alu 0xfffd
	v_add_co_ci_u32_e32 v20, vcc_lo, v24, v20, vcc_lo
	v_mad_co_u64_u32 v[29:30], null, s16, v31, 0
	v_mov_b32_e32 v23, v28
	v_add_co_u32 v26, vcc_lo, s0, v21
	s_wait_alu 0xfffd
	v_add_co_ci_u32_e32 v28, vcc_lo, s1, v22, vcc_lo
	v_lshlrev_b64_e32 v[21:22], 4, v[53:54]
	v_mad_co_u64_u32 v[23:24], null, s17, v25, v[23:24]
	v_mov_b32_e32 v24, v30
	v_mul_u32_u24_e32 v30, 0xc1f, v33
	v_add_nc_u16 v33, v0, 0x57c
	v_add_co_u32 v25, vcc_lo, v26, v21
	s_wait_alu 0xfffd
	v_add_co_ci_u32_e32 v26, vcc_lo, v28, v22, vcc_lo
	v_lshrrev_b32_e32 v77, 19, v30
	s_delay_alu instid0(VALU_DEP_3) | instskip(SKIP_2) | instid1(VALU_DEP_4)
	v_mad_co_u64_u32 v[30:31], null, s17, v31, v[24:25]
	v_mov_b32_e32 v28, v23
	v_mul_lo_u32 v53, s18, v73
	v_mul_lo_u16 v31, 0xa9, v77
	s_clause 0x1
	global_load_b128 v[19:22], v[19:20], off
	global_load_b128 v[23:26], v[25:26], off
	v_lshlrev_b64_e32 v[27:28], 4, v[27:28]
	v_lshlrev_b64_e32 v[29:30], 4, v[29:30]
	v_sub_nc_u16 v78, v32, v31
	v_and_b32_e32 v31, 0xffff, v33
	s_delay_alu instid0(VALU_DEP_4) | instskip(NEXT) | instid1(VALU_DEP_2)
	v_add_co_u32 v32, vcc_lo, s0, v27
	v_mul_u32_u24_e32 v31, 0xc1f, v31
	s_delay_alu instid0(VALU_DEP_4)
	v_and_b32_e32 v37, 0xffff, v78
	s_wait_alu 0xfffd
	v_add_co_ci_u32_e32 v34, vcc_lo, s1, v28, vcc_lo
	v_lshlrev_b64_e32 v[27:28], 4, v[53:54]
	v_lshrrev_b32_e32 v79, 19, v31
	v_mul_lo_u32 v53, s18, v75
	v_mad_co_u64_u32 v[35:36], null, s16, v37, 0
	s_delay_alu instid0(VALU_DEP_4) | instskip(NEXT) | instid1(VALU_DEP_4)
	v_add_co_u32 v27, vcc_lo, v32, v27
	v_mul_lo_u16 v31, 0xa9, v79
	s_wait_alu 0xfffd
	v_add_co_ci_u32_e32 v28, vcc_lo, v34, v28, vcc_lo
	v_add_co_u32 v32, vcc_lo, s0, v29
	s_wait_alu 0xfffd
	v_add_co_ci_u32_e32 v34, vcc_lo, s1, v30, vcc_lo
	v_sub_nc_u16 v80, v33, v31
	v_lshlrev_b64_e32 v[30:31], 4, v[53:54]
	v_mov_b32_e32 v29, v36
	v_mul_lo_u32 v53, s18, v77
	s_delay_alu instid0(VALU_DEP_4) | instskip(NEXT) | instid1(VALU_DEP_3)
	v_and_b32_e32 v39, 0xffff, v80
	v_mad_co_u64_u32 v[36:37], null, s17, v37, v[29:30]
	v_and_b32_e32 v29, 0xffff, v40
	s_delay_alu instid0(VALU_DEP_3) | instskip(SKIP_1) | instid1(VALU_DEP_3)
	v_mad_co_u64_u32 v[37:38], null, s16, v39, 0
	v_add_co_u32 v32, vcc_lo, v32, v30
	v_mul_u32_u24_e32 v41, 0xc1f, v29
	v_lshlrev_b64_e32 v[35:36], 4, v[35:36]
	s_wait_alu 0xfffd
	v_add_co_ci_u32_e32 v33, vcc_lo, v34, v31, vcc_lo
	v_mad_co_u64_u32 v[38:39], null, s17, v39, v[38:39]
	v_lshrrev_b32_e32 v81, 19, v41
	v_and_b32_e32 v41, 0xffff, v42
	v_mul_u32_u24_e32 v39, 0xc1f, v45
	s_clause 0x1
	global_load_b128 v[27:30], v[27:28], off
	global_load_b128 v[31:34], v[32:33], off
	v_mul_lo_u16 v44, 0xa9, v81
	v_mul_u32_u24_e32 v41, 0xc1f, v41
	v_lshrrev_b32_e32 v84, 19, v39
	v_lshlrev_b64_e32 v[37:38], 4, v[37:38]
	s_delay_alu instid0(VALU_DEP_4) | instskip(NEXT) | instid1(VALU_DEP_4)
	v_sub_nc_u16 v82, v40, v44
	v_lshrrev_b32_e32 v83, 19, v41
	v_add_co_u32 v41, vcc_lo, s0, v35
	s_wait_alu 0xfffd
	v_add_co_ci_u32_e32 v44, vcc_lo, s1, v36, vcc_lo
	s_delay_alu instid0(VALU_DEP_3) | instskip(SKIP_3) | instid1(VALU_DEP_4)
	v_mul_lo_u16 v46, 0xa9, v83
	v_lshlrev_b64_e32 v[35:36], 4, v[53:54]
	v_and_b32_e32 v45, 0xffff, v82
	v_mul_lo_u32 v53, s18, v79
	v_sub_nc_u16 v85, v42, v46
	v_mul_lo_u16 v42, 0xa9, v84
	s_delay_alu instid0(VALU_DEP_4) | instskip(SKIP_1) | instid1(VALU_DEP_4)
	v_mad_co_u64_u32 v[39:40], null, s16, v45, 0
	v_add_co_u32 v35, vcc_lo, v41, v35
	v_and_b32_e32 v48, 0xffff, v85
	s_delay_alu instid0(VALU_DEP_4)
	v_sub_nc_u16 v86, v43, v42
	s_wait_alu 0xfffd
	v_add_co_ci_u32_e32 v36, vcc_lo, v44, v36, vcc_lo
	v_add_co_u32 v49, vcc_lo, s0, v37
	v_mad_co_u64_u32 v[41:42], null, s16, v48, 0
	v_and_b32_e32 v50, 0xffff, v86
	v_lshlrev_b64_e32 v[46:47], 4, v[53:54]
	s_wait_alu 0xfffd
	v_add_co_ci_u32_e32 v51, vcc_lo, s1, v38, vcc_lo
	v_mul_lo_u32 v53, s18, v81
	v_mov_b32_e32 v37, v42
	v_mad_co_u64_u32 v[43:44], null, s17, v45, v[40:41]
	v_mad_co_u64_u32 v[44:45], null, s16, v50, 0
	s_delay_alu instid0(VALU_DEP_3) | instskip(SKIP_1) | instid1(VALU_DEP_4)
	v_mad_co_u64_u32 v[37:38], null, s17, v48, v[37:38]
	v_add_co_u32 v46, vcc_lo, v49, v46
	v_mov_b32_e32 v40, v43
	s_wait_alu 0xfffd
	v_add_co_ci_u32_e32 v47, vcc_lo, v51, v47, vcc_lo
	v_mov_b32_e32 v38, v45
	v_lshlrev_b64_e32 v[48:49], 4, v[53:54]
	v_lshlrev_b64_e32 v[39:40], 4, v[39:40]
	v_mul_lo_u32 v53, s18, v83
	v_mov_b32_e32 v42, v37
	s_delay_alu instid0(VALU_DEP_3) | instskip(SKIP_4) | instid1(VALU_DEP_3)
	v_mad_co_u64_u32 v[50:51], null, s17, v50, v[38:39]
	v_add_co_u32 v39, vcc_lo, s0, v39
	s_wait_alu 0xfffd
	v_add_co_ci_u32_e32 v40, vcc_lo, s1, v40, vcc_lo
	v_lshlrev_b64_e32 v[37:38], 4, v[41:42]
	v_add_co_u32 v48, vcc_lo, v39, v48
	v_mov_b32_e32 v45, v50
	s_wait_alu 0xfffd
	v_add_co_ci_u32_e32 v49, vcc_lo, v40, v49, vcc_lo
	v_lshlrev_b64_e32 v[39:40], 4, v[53:54]
	v_mul_lo_u32 v53, s18, v84
	v_lshlrev_b64_e32 v[41:42], 4, v[44:45]
	v_add_co_u32 v43, vcc_lo, s0, v37
	s_wait_alu 0xfffd
	v_add_co_ci_u32_e32 v44, vcc_lo, s1, v38, vcc_lo
	s_mov_b32 s16, 0x66966769
	s_delay_alu instid0(VALU_DEP_3)
	v_add_co_u32 v41, vcc_lo, s0, v41
	v_lshlrev_b64_e32 v[37:38], 4, v[53:54]
	s_wait_alu 0xfffd
	v_add_co_ci_u32_e32 v42, vcc_lo, s1, v42, vcc_lo
	v_add_co_u32 v50, vcc_lo, v43, v39
	s_wait_alu 0xfffd
	v_add_co_ci_u32_e32 v51, vcc_lo, v44, v40, vcc_lo
	v_add_co_u32 v52, vcc_lo, v41, v37
	s_wait_alu 0xfffd
	v_add_co_ci_u32_e32 v53, vcc_lo, v42, v38, vcc_lo
	s_clause 0x4
	global_load_b128 v[35:38], v[35:36], off
	global_load_b128 v[39:42], v[46:47], off
	;; [unrolled: 1-line block ×5, first 2 shown]
	v_mul_u32_u24_e32 v47, 0x1556, v0
	v_mul_lo_u16 v48, v55, 12
	v_mul_lo_u16 v51, v65, 12
	v_mad_u16 v52, v67, 12, v64
	v_mad_u16 v53, v68, 12, v66
	v_lshrrev_b32_e32 v50, 16, v47
	v_or_b32_e32 v1, v48, v1
	v_or_b32_e32 v2, v51, v2
	v_mad_u16 v64, v70, 12, v69
	v_mad_u16 v65, v72, 12, v71
	v_mul_lo_u16 v47, v50, 12
	v_and_b32_e32 v1, 0xffff, v1
	v_mad_u16 v66, v74, 12, v73
	v_mad_u16 v67, v76, 12, v75
	;; [unrolled: 1-line block ×3, first 2 shown]
	v_sub_nc_u16 v47, v0, v47
	v_mad_u16 v69, v80, 12, v79
	v_mad_u16 v70, v82, 12, v81
	;; [unrolled: 1-line block ×4, first 2 shown]
	v_and_b32_e32 v49, 0xffff, v47
	v_mul_u32_u24_e32 v47, 0xc0, v50
	v_and_b32_e32 v2, 0xffff, v2
	v_and_b32_e32 v51, 0xffff, v64
	v_lshl_add_u32 v1, v1, 4, 0
	v_lshlrev_b32_e32 v48, 4, v49
	v_and_b32_e32 v64, 0xffff, v67
	v_and_b32_e32 v67, 0xffff, v70
	v_lshl_add_u32 v2, v2, 4, 0
	s_add_nc_u64 s[0:1], s[22:23], s[6:7]
	v_add3_u32 v55, 0, v47, v48
	v_and_b32_e32 v47, 0xffff, v52
	v_and_b32_e32 v48, 0xffff, v53
	;; [unrolled: 1-line block ×8, first 2 shown]
	v_lshl_add_u32 v47, v47, 4, 0
	v_lshl_add_u32 v48, v48, 4, 0
	;; [unrolled: 1-line block ×3, first 2 shown]
	s_load_b64 s[50:51], s[0:1], 0x0
	v_lshl_add_u32 v52, v52, 4, 0
	v_lshl_add_u32 v53, v53, 4, 0
	;; [unrolled: 1-line block ×8, first 2 shown]
	s_mov_b32 s22, 0x42a4c3d2
	s_mov_b32 s23, 0xbfea55e2
	;; [unrolled: 1-line block ×11, first 2 shown]
	v_mul_u32_u24_e32 v0, 0x1a5, v0
	s_wait_loadcnt 0xc
	ds_store_b128 v1, v[3:6]
	s_wait_loadcnt 0xb
	ds_store_b128 v2, v[7:10]
	;; [unrolled: 2-line block ×13, first 2 shown]
	global_wb scope:SCOPE_SE
	s_wait_dscnt 0x0
	s_wait_kmcnt 0x0
	s_barrier_signal -1
	s_barrier_wait -1
	global_inv scope:SCOPE_SE
	ds_load_b128 v[5:8], v55
	ds_load_b128 v[25:28], v55 offset:2496
	ds_load_b128 v[31:34], v55 offset:4992
	;; [unrolled: 1-line block ×9, first 2 shown]
	s_wait_dscnt 0x8
	v_add_f64_e32 v[21:22], v[5:6], v[25:26]
	v_add_f64_e32 v[23:24], v[7:8], v[27:28]
	s_wait_dscnt 0x6
	v_add_f64_e64 v[72:73], v[27:28], -v[3:4]
	v_add_f64_e32 v[74:75], v[27:28], v[3:4]
	s_wait_dscnt 0x1
	v_add_f64_e32 v[92:93], v[60:61], v[17:18]
	v_add_f64_e64 v[76:77], v[33:34], -v[11:12]
	v_add_f64_e32 v[78:79], v[33:34], v[11:12]
	v_add_f64_e32 v[88:89], v[25:26], v[1:2]
	v_add_f64_e64 v[90:91], v[25:26], -v[1:2]
	v_add_f64_e64 v[80:81], v[58:59], -v[15:16]
	v_add_f64_e32 v[82:83], v[58:59], v[15:16]
	v_add_f64_e64 v[84:85], v[62:63], -v[19:20]
	v_add_f64_e32 v[86:87], v[62:63], v[19:20]
	v_add_f64_e32 v[96:97], v[56:57], v[13:14]
	;; [unrolled: 1-line block ×4, first 2 shown]
	v_mul_f64_e32 v[102:103], s[22:23], v[72:73]
	v_mul_f64_e32 v[110:111], s[8:9], v[74:75]
	;; [unrolled: 1-line block ×3, first 2 shown]
	s_wait_alu 0xfffe
	v_mul_f64_e32 v[104:105], s[16:17], v[72:73]
	v_mul_f64_e32 v[106:107], s[34:35], v[72:73]
	;; [unrolled: 1-line block ×9, first 2 shown]
	ds_load_b128 v[21:24], v55 offset:19968
	ds_load_b128 v[68:71], v55 offset:14976
	;; [unrolled: 1-line block ×3, first 2 shown]
	v_mul_f64_e32 v[130:131], s[34:35], v[76:77]
	v_mul_f64_e32 v[132:133], s[38:39], v[78:79]
	;; [unrolled: 1-line block ×18, first 2 shown]
	s_wait_dscnt 0x2
	v_add_f64_e32 v[43:44], v[66:67], v[23:24]
	v_add_f64_e64 v[45:46], v[66:67], -v[23:24]
	v_add_f64_e32 v[37:38], v[64:65], v[21:22]
	v_add_f64_e64 v[35:36], v[64:65], -v[21:22]
	v_add_f64_e32 v[94:95], v[47:48], v[56:57]
	v_add_f64_e32 v[51:52], v[51:52], v[58:59]
	v_add_f64_e64 v[47:48], v[60:61], -v[17:18]
	v_add_f64_e32 v[58:59], v[31:32], v[9:10]
	v_add_f64_e64 v[31:32], v[31:32], -v[9:10]
	v_fma_f64 v[190:191], v[88:89], s[8:9], v[102:103]
	v_fma_f64 v[186:187], v[88:89], s[0:1], v[98:99]
	v_fma_f64 v[98:99], v[88:89], s[0:1], -v[98:99]
	v_fma_f64 v[102:103], v[88:89], s[8:9], -v[102:103]
	v_fma_f64 v[192:193], v[88:89], s[18:19], v[104:105]
	v_fma_f64 v[104:105], v[88:89], s[18:19], -v[104:105]
	v_fma_f64 v[194:195], v[88:89], s[38:39], v[106:107]
	;; [unrolled: 2-line block ×4, first 2 shown]
	v_add_f64_e64 v[56:57], v[56:57], -v[13:14]
	v_mul_f64_e32 v[162:163], s[24:25], v[76:77]
	v_mul_f64_e32 v[164:165], s[18:19], v[78:79]
	;; [unrolled: 1-line block ×8, first 2 shown]
	v_fma_f64 v[188:189], v[90:91], s[6:7], v[100:101]
	v_fma_f64 v[100:101], v[90:91], s[26:27], v[100:101]
	;; [unrolled: 1-line block ×6, first 2 shown]
	s_wait_dscnt 0x0
	v_add_f64_e32 v[33:34], v[68:69], v[27:28]
	v_add_f64_e32 v[39:40], v[70:71], v[29:30]
	v_add_f64_e64 v[25:26], v[68:69], -v[27:28]
	v_add_f64_e64 v[41:42], v[70:71], -v[29:30]
	v_fma_f64 v[206:207], v[96:97], s[18:19], -v[122:123]
	v_fma_f64 v[210:211], v[92:93], s[38:39], -v[126:127]
	v_fma_f64 v[218:219], v[96:97], s[44:45], v[134:135]
	v_add_f64_e32 v[60:61], v[94:95], v[60:61]
	v_add_f64_e32 v[51:52], v[51:52], v[62:63]
	v_mul_f64_e32 v[62:63], s[42:43], v[78:79]
	v_mul_f64_e32 v[94:95], s[6:7], v[80:81]
	;; [unrolled: 1-line block ×4, first 2 shown]
	v_fma_f64 v[214:215], v[58:59], s[38:39], v[130:131]
	v_fma_f64 v[216:217], v[31:32], s[40:41], v[132:133]
	v_add_f64_e32 v[190:191], v[5:6], v[190:191]
	v_fma_f64 v[224:225], v[58:59], s[44:45], v[142:143]
	v_fma_f64 v[226:227], v[31:32], s[46:47], v[144:145]
	v_add_f64_e32 v[192:193], v[5:6], v[192:193]
	v_fma_f64 v[204:205], v[31:32], s[22:23], v[120:121]
	v_fma_f64 v[222:223], v[92:93], s[42:43], v[138:139]
	;; [unrolled: 1-line block ×14, first 2 shown]
	v_add_f64_e32 v[100:101], v[7:8], v[100:101]
	v_add_f64_e32 v[194:195], v[5:6], v[194:195]
	;; [unrolled: 1-line block ×14, first 2 shown]
	v_fma_f64 v[66:67], v[90:91], s[10:11], v[110:111]
	v_fma_f64 v[64:65], v[88:89], s[44:45], -v[72:73]
	v_fma_f64 v[88:89], v[90:91], s[24:25], v[112:113]
	v_fma_f64 v[72:73], v[90:91], s[22:23], v[110:111]
	v_fma_f64 v[110:111], v[90:91], s[16:17], v[112:113]
	v_fma_f64 v[112:113], v[90:91], s[40:41], v[114:115]
	v_fma_f64 v[114:115], v[90:91], s[34:35], v[114:115]
	v_fma_f64 v[90:91], v[58:59], s[8:9], -v[118:119]
	v_fma_f64 v[236:237], v[31:32], s[30:31], v[62:63]
	v_fma_f64 v[238:239], v[96:97], s[0:1], v[94:95]
	v_fma_f64 v[62:63], v[31:32], s[48:49], v[62:63]
	v_fma_f64 v[94:95], v[96:97], s[0:1], -v[94:95]
	v_add_f64_e32 v[116:117], v[7:8], v[116:117]
	v_mul_f64_e32 v[140:141], s[42:43], v[86:87]
	v_add_f64_e32 v[190:191], v[214:215], v[190:191]
	v_mul_f64_e32 v[152:153], s[0:1], v[86:87]
	;; [unrolled: 2-line block ×3, first 2 shown]
	v_mul_f64_e32 v[160:161], s[18:19], v[86:87]
	v_mul_f64_e32 v[172:173], s[44:45], v[86:87]
	;; [unrolled: 1-line block ×6, first 2 shown]
	v_add_f64_e32 v[100:101], v[204:205], v[100:101]
	v_add_f64_e32 v[194:195], v[234:235], v[194:195]
	;; [unrolled: 1-line block ×4, first 2 shown]
	v_mul_f64_e32 v[204:205], s[22:23], v[45:46]
	v_mul_f64_e32 v[174:175], s[30:31], v[45:46]
	;; [unrolled: 1-line block ×8, first 2 shown]
	v_add_f64_e32 v[60:61], v[60:61], v[68:69]
	v_add_f64_e32 v[51:52], v[51:52], v[70:71]
	;; [unrolled: 1-line block ×3, first 2 shown]
	v_fma_f64 v[68:69], v[92:93], s[44:45], v[170:171]
	v_add_f64_e32 v[88:89], v[7:8], v[88:89]
	v_fma_f64 v[70:71], v[58:59], s[8:9], v[118:119]
	v_fma_f64 v[118:119], v[58:59], s[38:39], -v[130:131]
	v_fma_f64 v[130:131], v[58:59], s[44:45], -v[142:143]
	;; [unrolled: 1-line block ×4, first 2 shown]
	v_fma_f64 v[162:163], v[58:59], s[0:1], v[76:77]
	v_fma_f64 v[58:59], v[58:59], s[0:1], -v[76:77]
	v_fma_f64 v[76:77], v[31:32], s[10:11], v[120:121]
	v_fma_f64 v[120:121], v[31:32], s[34:35], v[132:133]
	;; [unrolled: 1-line block ×7, first 2 shown]
	v_fma_f64 v[122:123], v[96:97], s[44:45], -v[134:135]
	v_fma_f64 v[134:135], v[96:97], s[38:39], -v[146:147]
	;; [unrolled: 1-line block ×3, first 2 shown]
	v_fma_f64 v[166:167], v[96:97], s[42:43], v[80:81]
	v_fma_f64 v[80:81], v[96:97], s[42:43], -v[80:81]
	v_fma_f64 v[96:97], v[56:57], s[24:25], v[124:125]
	v_fma_f64 v[124:125], v[56:57], s[36:37], v[136:137]
	;; [unrolled: 1-line block ×8, first 2 shown]
	v_fma_f64 v[126:127], v[92:93], s[42:43], -v[138:139]
	v_fma_f64 v[138:139], v[92:93], s[0:1], -v[150:151]
	;; [unrolled: 1-line block ×4, first 2 shown]
	v_fma_f64 v[170:171], v[92:93], s[8:9], v[84:85]
	v_fma_f64 v[84:85], v[92:93], s[8:9], -v[84:85]
	v_add_f64_e32 v[92:93], v[5:6], v[98:99]
	v_add_f64_e32 v[112:113], v[7:8], v[112:113]
	;; [unrolled: 1-line block ×20, first 2 shown]
	v_fma_f64 v[98:99], v[47:48], s[30:31], v[140:141]
	v_add_f64_e32 v[190:191], v[218:219], v[190:191]
	v_fma_f64 v[64:65], v[47:48], s[26:27], v[152:153]
	v_add_f64_e32 v[192:193], v[228:229], v[192:193]
	v_fma_f64 v[212:213], v[47:48], s[34:35], v[128:129]
	v_fma_f64 v[74:75], v[47:48], s[6:7], v[152:153]
	;; [unrolled: 1-line block ×3, first 2 shown]
	v_mul_f64_e32 v[226:227], s[46:47], v[45:46]
	v_add_f64_e32 v[100:101], v[208:209], v[100:101]
	v_add_f64_e32 v[194:195], v[238:239], v[194:195]
	v_fma_f64 v[51:52], v[47:48], s[36:37], v[172:173]
	v_mul_f64_e32 v[186:187], s[0:1], v[43:44]
	v_add_f64_e32 v[196:197], v[248:249], v[196:197]
	v_add_f64_e32 v[200:201], v[250:251], v[200:201]
	v_fma_f64 v[60:61], v[47:48], s[46:47], v[172:173]
	v_fma_f64 v[172:173], v[47:48], s[22:23], v[86:87]
	v_mul_f64_e32 v[45:46], s[34:35], v[45:46]
	v_mul_f64_e32 v[43:44], s[38:39], v[43:44]
	v_add_f64_e32 v[90:91], v[90:91], v[92:93]
	v_add_f64_e32 v[112:113], v[236:237], v[112:113]
	;; [unrolled: 1-line block ×18, first 2 shown]
	v_fma_f64 v[128:129], v[47:48], s[40:41], v[128:129]
	v_fma_f64 v[140:141], v[47:48], s[48:49], v[140:141]
	;; [unrolled: 1-line block ×4, first 2 shown]
	v_add_f64_e32 v[76:77], v[96:97], v[76:77]
	v_mul_f64_e32 v[86:87], s[6:7], v[41:42]
	v_mul_f64_e32 v[92:93], s[0:1], v[39:40]
	;; [unrolled: 1-line block ×9, first 2 shown]
	v_fma_f64 v[154:155], v[37:38], s[18:19], v[182:183]
	v_fma_f64 v[198:199], v[35:36], s[16:17], v[184:185]
	v_add_f64_e32 v[134:135], v[222:223], v[190:191]
	v_fma_f64 v[31:32], v[37:38], s[8:9], v[204:205]
	v_fma_f64 v[144:145], v[35:36], s[10:11], v[214:215]
	v_fma_f64 v[130:131], v[37:38], s[42:43], -v[174:175]
	v_add_f64_e32 v[90:91], v[206:207], v[90:91]
	v_add_f64_e32 v[112:113], v[240:241], v[112:113]
	;; [unrolled: 1-line block ×3, first 2 shown]
	v_fma_f64 v[132:133], v[35:36], s[30:31], v[176:177]
	v_add_f64_e32 v[62:63], v[148:149], v[62:63]
	v_add_f64_e32 v[5:6], v[80:81], v[5:6]
	;; [unrolled: 1-line block ×10, first 2 shown]
	v_fma_f64 v[29:30], v[37:38], s[44:45], v[226:227]
	v_fma_f64 v[206:207], v[35:36], s[36:37], v[234:235]
	v_add_f64_e32 v[100:101], v[212:213], v[100:101]
	v_add_f64_e32 v[88:89], v[242:243], v[194:195]
	v_fma_f64 v[220:221], v[37:38], s[0:1], v[246:247]
	v_fma_f64 v[228:229], v[35:36], s[26:27], v[186:187]
	v_add_f64_e32 v[68:69], v[68:69], v[196:197]
	v_add_f64_e32 v[51:52], v[51:52], v[200:201]
	v_fma_f64 v[174:175], v[37:38], s[42:43], v[174:175]
	v_fma_f64 v[182:183], v[37:38], s[18:19], -v[182:183]
	v_fma_f64 v[204:205], v[37:38], s[8:9], -v[204:205]
	;; [unrolled: 1-line block ×3, first 2 shown]
	v_fma_f64 v[23:24], v[37:38], s[38:39], v[45:46]
	v_fma_f64 v[124:125], v[35:36], s[40:41], v[43:44]
	v_add_f64_e32 v[70:71], v[82:83], v[70:71]
	v_add_f64_e32 v[78:79], v[126:127], v[78:79]
	;; [unrolled: 1-line block ×7, first 2 shown]
	v_fma_f64 v[21:22], v[37:38], s[0:1], -v[246:247]
	v_fma_f64 v[37:38], v[37:38], s[38:39], -v[45:46]
	v_fma_f64 v[45:46], v[35:36], s[48:49], v[176:177]
	v_add_f64_e32 v[90:91], v[210:211], v[90:91]
	v_add_f64_e32 v[112:113], v[152:153], v[112:113]
	v_fma_f64 v[96:97], v[35:36], s[24:25], v[184:185]
	v_fma_f64 v[110:111], v[35:36], s[22:23], v[214:215]
	;; [unrolled: 1-line block ×5, first 2 shown]
	v_add_f64_e32 v[5:6], v[84:85], v[5:6]
	v_add_f64_e32 v[7:8], v[47:48], v[7:8]
	;; [unrolled: 1-line block ×9, first 2 shown]
	v_fma_f64 v[142:143], v[33:34], s[44:45], -v[178:179]
	v_fma_f64 v[114:115], v[25:26], s[36:37], v[180:181]
	v_fma_f64 v[202:203], v[33:34], s[0:1], v[86:87]
	;; [unrolled: 1-line block ×10, first 2 shown]
	v_fma_f64 v[86:87], v[33:34], s[0:1], -v[86:87]
	v_fma_f64 v[74:75], v[33:34], s[42:43], -v[216:217]
	;; [unrolled: 1-line block ×4, first 2 shown]
	v_fma_f64 v[84:85], v[33:34], s[18:19], v[41:42]
	v_fma_f64 v[108:109], v[33:34], s[18:19], -v[41:42]
	v_fma_f64 v[118:119], v[25:26], s[16:17], v[39:40]
	v_fma_f64 v[39:40], v[25:26], s[24:25], v[39:40]
	;; [unrolled: 1-line block ×7, first 2 shown]
	v_add_f64_e32 v[25:26], v[154:155], v[134:135]
	v_add_f64_e32 v[33:34], v[198:199], v[66:67]
	;; [unrolled: 1-line block ×26, first 2 shown]
	v_mul_lo_u16 v5, v50, 20
	global_wb scope:SCOPE_SE
	s_barrier_signal -1
	s_barrier_wait -1
	global_inv scope:SCOPE_SE
	v_lshrrev_b16 v53, 8, v5
	v_add_f64_e32 v[9:10], v[202:203], v[25:26]
	v_add_f64_e32 v[11:12], v[58:59], v[33:34]
	v_add_f64_e32 v[13:14], v[188:189], v[31:32]
	v_add_f64_e32 v[15:16], v[27:28], v[41:42]
	v_add_f64_e32 v[5:6], v[142:143], v[17:18]
	v_add_f64_e32 v[7:8], v[114:115], v[19:20]
	v_add_f64_e32 v[17:18], v[208:209], v[29:30]
	v_add_f64_e32 v[19:20], v[218:219], v[64:65]
	v_add_f64_e32 v[21:22], v[230:231], v[66:67]
	v_add_f64_e32 v[23:24], v[238:239], v[51:52]
	v_add_f64_e32 v[25:26], v[43:44], v[68:69]
	v_add_f64_e32 v[29:30], v[86:87], v[70:71]
	v_add_f64_e32 v[33:34], v[74:75], v[78:79]
	v_add_f64_e32 v[37:38], v[76:77], v[82:83]
	v_add_f64_e32 v[45:46], v[84:85], v[90:91]
	v_add_f64_e32 v[47:48], v[118:119], v[94:95]
	v_add_f64_e32 v[56:57], v[108:109], v[98:99]
	v_add_f64_e32 v[58:59], v[39:40], v[35:36]
	v_add_f64_e32 v[41:42], v[80:81], v[88:89]
	v_add_f64_e32 v[43:44], v[120:121], v[100:101]
	v_add_f64_e32 v[39:40], v[126:127], v[102:103]
	v_add_f64_e32 v[35:36], v[128:129], v[60:61]
	v_add_f64_e32 v[31:32], v[92:93], v[62:63]
	v_add_f64_e32 v[27:28], v[136:137], v[72:73]
	v_add_f64_e32 v[1:2], v[96:97], v[1:2]
	v_add_f64_e32 v[3:4], v[104:105], v[3:4]
	v_mul_lo_u16 v51, v53, 13
	s_delay_alu instid0(VALU_DEP_1)
	v_sub_nc_u16 v51, v50, v51
	v_mad_u32_u24 v50, 0x900, v50, v55
	ds_store_b128 v50, v[9:12] offset:384
	ds_store_b128 v50, v[13:16] offset:576
	;; [unrolled: 1-line block ×12, first 2 shown]
	ds_store_b128 v50, v[1:4]
	v_and_b32_e32 v51, 0xff, v51
	global_wb scope:SCOPE_SE
	s_wait_dscnt 0x0
	s_barrier_signal -1
	s_barrier_wait -1
	global_inv scope:SCOPE_SE
	v_mul_u32_u24_e32 v52, 12, v51
	v_lshrrev_b32_e32 v50, 16, v0
	s_delay_alu instid0(VALU_DEP_2)
	v_lshlrev_b32_e32 v52, 4, v52
	s_clause 0xb
	global_load_b128 v[17:20], v52, s[4:5]
	global_load_b128 v[25:28], v52, s[4:5] offset:176
	global_load_b128 v[21:24], v52, s[4:5] offset:16
	;; [unrolled: 1-line block ×11, first 2 shown]
	ds_load_b128 v[57:60], v55 offset:2496
	ds_load_b128 v[61:64], v55 offset:29952
	v_mad_co_u64_u32 v[52:53], null, s12, v49, 0
	s_lshl_b64 s[4:5], s[20:21], 4
	s_delay_alu instid0(SALU_CYCLE_1) | instskip(NEXT) | instid1(VALU_DEP_1)
	s_add_nc_u64 s[2:3], s[2:3], s[4:5]
	v_mov_b32_e32 v0, v53
	v_mul_lo_u16 v53, 0xa9, v50
	s_wait_loadcnt_dscnt 0xb01
	v_mul_f64_e32 v[105:106], v[59:60], v[19:20]
	v_mul_f64_e32 v[107:108], v[57:58], v[19:20]
	s_wait_loadcnt_dscnt 0xa00
	v_mul_f64_e32 v[125:126], v[63:64], v[27:28]
	v_mul_f64_e32 v[109:110], v[61:62], v[27:28]
	s_wait_loadcnt 0x0
	v_mad_co_u64_u32 v[49:50], null, s13, v49, v[0:1]
	v_and_b32_e32 v0, 0xffff, v53
	s_mul_u64 s[12:13], s[50:51], s[28:29]
	s_wait_alu 0xfffe
	s_lshl_b64 s[4:5], s[12:13], 4
	s_mul_i32 s12, s14, 13
	s_delay_alu instid0(VALU_DEP_2) | instskip(SKIP_1) | instid1(VALU_DEP_1)
	v_dual_mov_b32 v53, v49 :: v_dual_add_nc_u32 v0, v51, v0
	s_add_nc_u64 s[2:3], s[4:5], s[2:3]
	v_lshlrev_b64_e32 v[89:90], 4, v[52:53]
	ds_load_b128 v[65:68], v55 offset:4992
	ds_load_b128 v[69:72], v55 offset:7488
	;; [unrolled: 1-line block ×6, first 2 shown]
	ds_load_b128 v[49:52], v55
	v_mul_lo_u32 v53, v0, s14
	s_wait_alu 0xfffe
	v_add_co_u32 v0, vcc_lo, s2, v89
	s_wait_alu 0xfffd
	v_add_co_ci_u32_e32 v56, vcc_lo, s3, v90, vcc_lo
	ds_load_b128 v[89:92], v55 offset:12480
	ds_load_b128 v[93:96], v55 offset:14976
	;; [unrolled: 1-line block ×4, first 2 shown]
	v_lshlrev_b64_e32 v[19:20], 4, v[53:54]
	v_add_nc_u32_e32 v53, s12, v53
	v_fma_f64 v[57:58], v[57:58], v[17:18], v[105:106]
	s_wait_dscnt 0xa
	v_mul_f64_e32 v[111:112], v[65:66], v[23:24]
	v_mul_f64_e32 v[127:128], v[67:68], v[23:24]
	s_wait_dscnt 0x9
	v_mul_f64_e32 v[131:132], v[71:72], v[31:32]
	s_wait_dscnt 0x7
	;; [unrolled: 2-line block ×4, first 2 shown]
	v_mul_f64_e32 v[121:122], v[85:86], v[47:48]
	v_mul_f64_e32 v[129:130], v[79:80], v[35:36]
	v_fma_f64 v[59:60], v[59:60], v[17:18], -v[107:108]
	v_mul_f64_e32 v[115:116], v[69:70], v[31:32]
	v_mul_f64_e32 v[119:120], v[73:74], v[39:40]
	;; [unrolled: 1-line block ×5, first 2 shown]
	s_wait_dscnt 0x3
	v_mul_f64_e32 v[135:136], v[89:90], v[15:16]
	s_wait_dscnt 0x2
	v_mul_f64_e32 v[137:138], v[93:94], v[11:12]
	;; [unrolled: 2-line block ×3, first 2 shown]
	v_mul_f64_e32 v[105:106], v[99:100], v[7:8]
	v_fma_f64 v[7:8], v[61:62], v[25:26], v[125:126]
	v_lshlrev_b64_e32 v[123:124], 4, v[53:54]
	v_add_nc_u32_e32 v53, s12, v53
	v_add_co_u32 v19, vcc_lo, v0, v19
	v_fma_f64 v[27:28], v[63:64], v[25:26], -v[109:110]
	s_wait_alu 0xfffd
	v_add_co_ci_u32_e32 v20, vcc_lo, v56, v20, vcc_lo
	v_lshlrev_b64_e32 v[23:24], 4, v[53:54]
	v_add_nc_u32_e32 v53, s12, v53
	v_add_co_u32 v17, vcc_lo, v0, v123
	s_wait_alu 0xfffd
	v_add_co_ci_u32_e32 v18, vcc_lo, v56, v124, vcc_lo
	s_delay_alu instid0(VALU_DEP_3)
	v_lshlrev_b64_e32 v[63:64], 4, v[53:54]
	v_add_nc_u32_e32 v53, s12, v53
	v_add_co_u32 v23, vcc_lo, v0, v23
	s_wait_alu 0xfffd
	v_add_co_ci_u32_e32 v24, vcc_lo, v56, v24, vcc_lo
	s_wait_dscnt 0x0
	v_mul_f64_e32 v[141:142], v[101:102], v[3:4]
	v_fma_f64 v[67:68], v[67:68], v[21:22], -v[111:112]
	v_fma_f64 v[61:62], v[65:66], v[21:22], v[127:128]
	v_add_f64_e32 v[65:66], v[49:50], v[57:58]
	v_fma_f64 v[31:32], v[79:80], v[33:34], -v[113:114]
	v_fma_f64 v[35:36], v[83:84], v[41:42], -v[117:118]
	;; [unrolled: 1-line block ×3, first 2 shown]
	v_mul_f64_e32 v[83:84], v[91:92], v[15:16]
	v_mul_f64_e32 v[87:88], v[95:96], v[11:12]
	v_fma_f64 v[11:12], v[77:78], v[33:34], v[129:130]
	v_fma_f64 v[33:34], v[69:70], v[29:30], v[131:132]
	v_add_f64_e32 v[69:70], v[51:52], v[59:60]
	v_lshlrev_b64_e32 v[79:80], 4, v[53:54]
	v_mul_f64_e32 v[107:108], v[103:104], v[3:4]
	v_add_co_u32 v3, vcc_lo, v0, v63
	s_wait_alu 0xfffd
	v_add_co_ci_u32_e32 v4, vcc_lo, v56, v64, vcc_lo
	s_delay_alu instid0(VALU_DEP_4)
	v_add_co_u32 v25, vcc_lo, v0, v79
	v_fma_f64 v[71:72], v[71:72], v[29:30], -v[115:116]
	v_fma_f64 v[15:16], v[81:82], v[41:42], v[43:44]
	v_fma_f64 v[41:42], v[91:92], v[13:14], -v[135:136]
	v_fma_f64 v[43:44], v[95:96], v[9:10], -v[137:138]
	s_wait_alu 0xfffd
	v_add_co_ci_u32_e32 v26, vcc_lo, v56, v80, vcc_lo
	v_fma_f64 v[75:76], v[75:76], v[37:38], -v[119:120]
	v_fma_f64 v[37:38], v[73:74], v[37:38], v[133:134]
	v_add_f64_e64 v[63:64], v[59:60], -v[27:28]
	v_fma_f64 v[21:22], v[85:86], v[45:46], v[47:48]
	v_fma_f64 v[45:46], v[99:100], v[5:6], -v[139:140]
	v_add_f64_e32 v[59:60], v[59:60], v[27:28]
	v_fma_f64 v[5:6], v[97:98], v[5:6], v[105:106]
	v_add_nc_u32_e32 v53, s12, v53
	v_fma_f64 v[47:48], v[103:104], v[1:2], -v[141:142]
	s_delay_alu instid0(VALU_DEP_2)
	v_lshlrev_b64_e32 v[29:30], 4, v[53:54]
	v_add_nc_u32_e32 v53, s12, v53
	v_add_f64_e64 v[77:78], v[67:68], -v[31:32]
	v_add_f64_e32 v[79:80], v[67:68], v[31:32]
	v_fma_f64 v[13:14], v[89:90], v[13:14], v[83:84]
	v_fma_f64 v[9:10], v[93:94], v[9:10], v[87:88]
	v_add_f64_e32 v[87:88], v[61:62], v[11:12]
	v_add_f64_e64 v[89:90], v[61:62], -v[11:12]
	v_add_f64_e32 v[61:62], v[65:66], v[61:62]
	v_add_f64_e32 v[67:68], v[69:70], v[67:68]
	v_fma_f64 v[1:2], v[101:102], v[1:2], v[107:108]
	v_add_f64_e32 v[83:84], v[57:58], v[7:8]
	v_add_f64_e64 v[57:58], v[57:58], -v[7:8]
	v_lshlrev_b64_e32 v[73:74], 4, v[53:54]
	v_add_nc_u32_e32 v53, s12, v53
	v_add_co_u32 v29, vcc_lo, v0, v29
	v_add_f64_e64 v[81:82], v[71:72], -v[35:36]
	v_add_f64_e32 v[93:94], v[33:34], v[15:16]
	v_add_f64_e64 v[95:96], v[33:34], -v[15:16]
	v_add_f64_e32 v[85:86], v[71:72], v[35:36]
	s_wait_alu 0xfffd
	v_add_co_ci_u32_e32 v30, vcc_lo, v56, v30, vcc_lo
	v_add_f64_e64 v[91:92], v[75:76], -v[39:40]
	v_add_f64_e32 v[99:100], v[75:76], v[39:40]
	v_mul_f64_e32 v[107:108], s[26:27], v[63:64]
	v_add_f64_e32 v[97:98], v[37:38], v[21:22]
	v_add_f64_e64 v[101:102], v[37:38], -v[21:22]
	v_mul_f64_e32 v[109:110], s[22:23], v[63:64]
	v_mul_f64_e32 v[111:112], s[16:17], v[63:64]
	;; [unrolled: 1-line block ×7, first 2 shown]
	v_add_f64_e64 v[65:66], v[41:42], -v[47:48]
	v_add_f64_e32 v[69:70], v[41:42], v[47:48]
	v_mul_f64_e32 v[121:122], s[18:19], v[59:60]
	v_mul_f64_e32 v[123:124], s[38:39], v[59:60]
	;; [unrolled: 1-line block ×9, first 2 shown]
	v_add_f64_e32 v[33:34], v[61:62], v[33:34]
	v_add_f64_e32 v[67:68], v[67:68], v[71:72]
	v_mul_f64_e32 v[149:150], s[44:45], v[79:80]
	v_mul_f64_e32 v[157:158], s[48:49], v[77:78]
	;; [unrolled: 1-line block ×26, first 2 shown]
	v_fma_f64 v[183:184], v[83:84], s[0:1], v[107:108]
	v_fma_f64 v[107:108], v[83:84], s[0:1], -v[107:108]
	v_fma_f64 v[185:186], v[83:84], s[8:9], v[109:110]
	v_fma_f64 v[109:110], v[83:84], s[8:9], -v[109:110]
	;; [unrolled: 2-line block ×4, first 2 shown]
	v_fma_f64 v[191:192], v[83:84], s[42:43], v[115:116]
	v_fma_f64 v[193:194], v[57:58], s[6:7], v[117:118]
	v_add_f64_e32 v[33:34], v[33:34], v[37:38]
	v_add_f64_e32 v[67:68], v[67:68], v[75:76]
	v_fma_f64 v[115:116], v[83:84], s[42:43], -v[115:116]
	v_fma_f64 v[117:118], v[57:58], s[26:27], v[117:118]
	v_fma_f64 v[195:196], v[83:84], s[44:45], v[63:64]
	;; [unrolled: 1-line block ×3, first 2 shown]
	v_fma_f64 v[63:64], v[83:84], s[44:45], -v[63:64]
	v_fma_f64 v[83:84], v[57:58], s[22:23], v[119:120]
	v_fma_f64 v[119:120], v[57:58], s[24:25], v[121:122]
	;; [unrolled: 1-line block ×31, first 2 shown]
	v_add_f64_e32 v[33:34], v[33:34], v[13:14]
	v_add_f64_e32 v[41:42], v[67:68], v[41:42]
	v_fma_f64 v[243:244], v[93:94], s[8:9], v[167:168]
	v_fma_f64 v[245:246], v[95:96], s[10:11], v[169:170]
	;; [unrolled: 1-line block ×3, first 2 shown]
	v_fma_f64 v[61:62], v[87:88], s[18:19], -v[61:62]
	v_fma_f64 v[71:72], v[89:90], s[24:25], v[71:72]
	v_fma_f64 v[167:168], v[93:94], s[8:9], -v[167:168]
	v_fma_f64 v[169:170], v[95:96], s[22:23], v[169:170]
	;; [unrolled: 2-line block ×3, first 2 shown]
	v_fma_f64 v[127:128], v[87:88], s[8:9], -v[127:128]
	v_fma_f64 v[137:138], v[87:88], s[38:39], -v[137:138]
	;; [unrolled: 1-line block ×5, first 2 shown]
	v_fma_f64 v[87:88], v[89:90], s[26:27], v[79:80]
	v_fma_f64 v[79:80], v[89:90], s[6:7], v[79:80]
	;; [unrolled: 1-line block ×7, first 2 shown]
	v_fma_f64 v[131:132], v[93:94], s[18:19], -v[131:132]
	v_fma_f64 v[141:142], v[93:94], s[44:45], -v[141:142]
	v_fma_f64 v[151:152], v[93:94], s[38:39], -v[151:152]
	v_fma_f64 v[159:160], v[93:94], s[0:1], -v[161:162]
	v_fma_f64 v[81:82], v[93:94], s[42:43], -v[81:82]
	v_fma_f64 v[93:94], v[95:96], s[48:49], v[85:86]
	v_fma_f64 v[85:86], v[95:96], s[30:31], v[85:86]
	;; [unrolled: 1-line block ×7, first 2 shown]
	v_fma_f64 v[135:136], v[97:98], s[38:39], -v[135:136]
	v_fma_f64 v[145:146], v[97:98], s[42:43], -v[145:146]
	;; [unrolled: 1-line block ×5, first 2 shown]
	v_fma_f64 v[97:98], v[101:102], s[36:37], v[173:174]
	v_fma_f64 v[165:166], v[101:102], s[46:47], v[173:174]
	v_add_f64_e32 v[173:174], v[49:50], v[183:184]
	v_add_f64_e32 v[33:34], v[33:34], v[9:10]
	;; [unrolled: 1-line block ×26, first 2 shown]
	v_mul_f64_e32 v[177:178], s[38:39], v[99:100]
	v_mul_f64_e32 v[179:180], s[42:43], v[99:100]
	;; [unrolled: 1-line block ×5, first 2 shown]
	v_add_f64_e32 v[105:106], v[43:44], v[45:46]
	v_add_f64_e64 v[103:104], v[43:44], -v[45:46]
	v_add_f64_e32 v[59:60], v[59:60], v[173:174]
	v_add_f64_e32 v[173:174], v[9:10], v[5:6]
	v_add_f64_e64 v[9:10], v[9:10], -v[5:6]
	v_add_f64_e32 v[5:6], v[33:34], v[5:6]
	v_add_f64_e32 v[41:42], v[41:42], v[45:46]
	;; [unrolled: 1-line block ×4, first 2 shown]
	v_add_f64_e64 v[13:14], v[13:14], -v[1:2]
	v_add_f64_e32 v[61:62], v[61:62], v[115:116]
	v_add_f64_e32 v[71:72], v[71:72], v[75:76]
	;; [unrolled: 1-line block ×22, first 2 shown]
	v_mul_f64_e32 v[127:128], s[6:7], v[65:66]
	v_mul_f64_e32 v[129:130], s[0:1], v[69:70]
	v_fma_f64 v[251:252], v[101:102], s[40:41], v[177:178]
	v_mul_f64_e32 v[33:34], s[30:31], v[65:66]
	v_mul_f64_e32 v[209:210], s[42:43], v[69:70]
	v_fma_f64 v[43:44], v[101:102], s[30:31], v[179:180]
	v_mul_f64_e32 v[45:46], s[24:25], v[65:66]
	v_mul_f64_e32 v[221:222], s[18:19], v[69:70]
	v_add_f64_e32 v[59:60], v[203:204], v[59:60]
	v_fma_f64 v[57:58], v[101:102], s[26:27], v[181:182]
	v_mul_f64_e32 v[239:240], s[22:23], v[65:66]
	v_add_f64_e32 v[1:2], v[5:6], v[1:2]
	v_add_f64_e32 v[41:42], v[41:42], v[47:48]
	;; [unrolled: 1-line block ×3, first 2 shown]
	v_mul_f64_e32 v[241:242], s[8:9], v[69:70]
	v_fma_f64 v[63:64], v[101:102], s[6:7], v[181:182]
	v_add_f64_e32 v[61:62], v[167:168], v[61:62]
	v_add_f64_e32 v[71:72], v[169:170], v[71:72]
	;; [unrolled: 1-line block ×6, first 2 shown]
	v_fma_f64 v[181:182], v[101:102], s[24:25], v[99:100]
	v_mul_f64_e32 v[249:250], s[46:47], v[65:66]
	v_mul_f64_e32 v[125:126], s[44:45], v[69:70]
	v_add_f64_e32 v[189:190], v[233:234], v[189:190]
	v_add_f64_e32 v[199:200], v[235:236], v[199:200]
	;; [unrolled: 1-line block ×4, first 2 shown]
	v_fma_f64 v[183:184], v[101:102], s[22:23], v[175:176]
	v_mul_f64_e32 v[65:66], s[34:35], v[65:66]
	v_mul_f64_e32 v[69:70], s[38:39], v[69:70]
	v_add_f64_e32 v[157:158], v[157:158], v[195:196]
	v_add_f64_e32 v[87:88], v[93:94], v[87:88]
	v_fma_f64 v[175:176], v[101:102], s[10:11], v[175:176]
	v_add_f64_e32 v[49:50], v[81:82], v[49:50]
	v_add_f64_e32 v[51:52], v[85:86], v[51:52]
	v_fma_f64 v[99:100], v[101:102], s[16:17], v[99:100]
	v_add_f64_e32 v[81:82], v[131:132], v[107:108]
	v_add_f64_e32 v[85:86], v[141:142], v[109:110]
	;; [unrolled: 1-line block ×6, first 2 shown]
	v_fma_f64 v[179:180], v[101:102], s[48:49], v[179:180]
	v_add_f64_e32 v[83:84], v[143:144], v[83:84]
	v_fma_f64 v[177:178], v[101:102], s[34:35], v[177:178]
	v_add_f64_e32 v[107:108], v[133:134], v[117:118]
	v_mul_f64_e32 v[5:6], s[38:39], v[105:106]
	v_add_f64_e32 v[1:2], v[1:2], v[21:22]
	v_add_f64_e32 v[39:40], v[41:42], v[39:40]
	v_fma_f64 v[167:168], v[201:202], s[0:1], v[127:128]
	v_fma_f64 v[169:170], v[13:14], s[26:27], v[129:130]
	v_fma_f64 v[127:128], v[201:202], s[0:1], -v[127:128]
	v_fma_f64 v[129:130], v[13:14], s[6:7], v[129:130]
	v_add_f64_e32 v[61:62], v[171:172], v[61:62]
	v_add_f64_e32 v[71:72], v[165:166], v[71:72]
	v_mul_f64_e32 v[211:212], s[36:37], v[103:104]
	v_mul_f64_e32 v[219:220], s[44:45], v[105:106]
	;; [unrolled: 1-line block ×7, first 2 shown]
	v_fma_f64 v[139:140], v[201:202], s[42:43], v[33:34]
	v_fma_f64 v[47:48], v[13:14], s[48:49], v[209:210]
	v_add_f64_e32 v[59:60], v[207:208], v[59:60]
	v_add_f64_e32 v[141:142], v[251:252], v[193:194]
	v_mul_f64_e32 v[229:230], s[6:7], v[103:104]
	v_fma_f64 v[147:148], v[201:202], s[18:19], v[45:46]
	v_fma_f64 v[123:124], v[13:14], s[16:17], v[221:222]
	v_add_f64_e32 v[143:144], v[217:218], v[185:186]
	v_add_f64_e32 v[43:44], v[43:44], v[197:198]
	v_fma_f64 v[213:214], v[201:202], s[8:9], v[239:240]
	v_fma_f64 v[215:216], v[13:14], s[10:11], v[241:242]
	v_add_f64_e32 v[151:152], v[227:228], v[187:188]
	v_add_f64_e32 v[57:58], v[57:58], v[119:120]
	v_mul_f64_e32 v[77:78], s[10:11], v[103:104]
	v_fma_f64 v[233:234], v[201:202], s[44:45], v[249:250]
	v_fma_f64 v[235:236], v[13:14], s[36:37], v[125:126]
	v_add_f64_e32 v[119:120], v[237:238], v[189:190]
	v_add_f64_e32 v[153:154], v[181:182], v[199:200]
	v_mul_f64_e32 v[137:138], s[34:35], v[103:104]
	v_add_f64_e32 v[159:160], v[247:248], v[191:192]
	v_add_f64_e32 v[37:38], v[97:98], v[37:38]
	v_mul_f64_e32 v[103:104], s[24:25], v[103:104]
	v_fma_f64 v[41:42], v[201:202], s[38:39], v[65:66]
	v_add_f64_e32 v[1:2], v[1:2], v[15:16]
	v_add_f64_e32 v[15:16], v[39:40], v[35:36]
	v_fma_f64 v[117:118], v[13:14], s[40:41], v[69:70]
	v_add_f64_e32 v[35:36], v[161:162], v[157:158]
	v_add_f64_e32 v[39:40], v[183:184], v[87:88]
	v_fma_f64 v[65:66], v[201:202], s[38:39], -v[65:66]
	v_fma_f64 v[69:70], v[13:14], s[34:35], v[69:70]
	v_add_f64_e32 v[49:50], v[91:92], v[49:50]
	v_add_f64_e32 v[51:52], v[175:176], v[51:52]
	v_fma_f64 v[33:34], v[201:202], s[42:43], -v[33:34]
	v_fma_f64 v[45:46], v[201:202], s[18:19], -v[45:46]
	v_fma_f64 v[113:114], v[201:202], s[44:45], -v[249:250]
	v_fma_f64 v[121:122], v[13:14], s[30:31], v[209:210]
	v_fma_f64 v[131:132], v[13:14], s[24:25], v[221:222]
	;; [unrolled: 1-line block ×4, first 2 shown]
	v_add_f64_e32 v[81:82], v[135:136], v[81:82]
	v_add_f64_e32 v[85:86], v[145:146], v[85:86]
	;; [unrolled: 1-line block ×4, first 2 shown]
	v_fma_f64 v[109:110], v[201:202], s[8:9], -v[239:240]
	v_add_f64_e32 v[67:68], v[155:156], v[67:68]
	v_add_f64_e32 v[63:64], v[63:64], v[95:96]
	;; [unrolled: 1-line block ×4, first 2 shown]
	v_fma_f64 v[125:126], v[9:10], s[40:41], v[5:6]
	v_fma_f64 v[5:6], v[9:10], s[34:35], v[5:6]
	v_add_f64_e32 v[61:62], v[127:128], v[61:62]
	v_add_f64_e32 v[71:72], v[129:130], v[71:72]
	v_fma_f64 v[111:112], v[173:174], s[44:45], v[211:212]
	v_fma_f64 v[149:150], v[9:10], s[46:47], v[219:220]
	;; [unrolled: 1-line block ×7, first 2 shown]
	v_fma_f64 v[107:108], v[173:174], s[42:43], -v[115:116]
	v_fma_f64 v[105:106], v[9:10], s[24:25], v[105:106]
	v_add_f64_e32 v[1:2], v[1:2], v[11:12]
	v_add_f64_e32 v[127:128], v[15:16], v[31:32]
	v_fma_f64 v[115:116], v[9:10], s[36:37], v[219:220]
	v_fma_f64 v[135:136], v[9:10], s[6:7], v[231:232]
	;; [unrolled: 1-line block ×4, first 2 shown]
	v_add_f64_e32 v[9:10], v[139:140], v[59:60]
	v_add_f64_e32 v[47:48], v[47:48], v[141:142]
	v_fma_f64 v[203:204], v[173:174], s[0:1], v[229:230]
	v_add_f64_e32 v[59:60], v[147:148], v[143:144]
	v_add_f64_e32 v[43:44], v[123:124], v[43:44]
	;; [unrolled: 1-line block ×4, first 2 shown]
	v_fma_f64 v[243:244], v[173:174], s[8:9], v[77:78]
	v_add_f64_e32 v[119:120], v[233:234], v[119:120]
	v_add_f64_e32 v[123:124], v[235:236], v[153:154]
	v_fma_f64 v[21:22], v[173:174], s[38:39], v[137:138]
	v_add_f64_e32 v[139:140], v[167:168], v[159:160]
	v_add_f64_e32 v[141:142], v[169:170], v[37:38]
	;; [unrolled: 3-line block ×3, first 2 shown]
	v_fma_f64 v[103:104], v[173:174], s[18:19], -v[103:104]
	v_add_f64_e32 v[65:66], v[65:66], v[49:50]
	v_add_f64_e32 v[51:52], v[69:70], v[51:52]
	v_fma_f64 v[137:138], v[173:174], s[38:39], -v[137:138]
	v_fma_f64 v[77:78], v[173:174], s[8:9], -v[77:78]
	v_add_f64_e32 v[69:70], v[33:34], v[81:82]
	v_add_f64_e32 v[81:82], v[45:46], v[85:86]
	;; [unrolled: 1-line block ×4, first 2 shown]
	v_fma_f64 v[97:98], v[173:174], s[44:45], -v[211:212]
	v_add_f64_e32 v[67:68], v[109:110], v[67:68]
	v_add_f64_e32 v[63:64], v[133:134], v[63:64]
	v_fma_f64 v[99:100], v[173:174], s[0:1], -v[229:230]
	v_add_f64_e32 v[83:84], v[131:132], v[83:84]
	v_add_f64_e32 v[89:90], v[121:122], v[91:92]
	;; [unrolled: 1-line block ×5, first 2 shown]
	v_lshlrev_b64_e32 v[101:102], 4, v[53:54]
	v_add_nc_u32_e32 v53, s12, v53
	v_add_co_u32 v91, vcc_lo, v0, v73
	v_add_f64_e32 v[9:10], v[111:112], v[9:10]
	v_add_f64_e32 v[11:12], v[149:150], v[47:48]
	s_wait_alu 0xfffd
	v_add_co_ci_u32_e32 v92, vcc_lo, v56, v74, vcc_lo
	v_add_f64_e32 v[13:14], v[203:204], v[59:60]
	v_add_f64_e32 v[15:16], v[205:206], v[43:44]
	;; [unrolled: 1-line block ×6, first 2 shown]
	v_lshlrev_b64_e32 v[109:110], 4, v[53:54]
	v_add_f64_e32 v[39:40], v[21:22], v[139:140]
	v_add_f64_e32 v[41:42], v[125:126], v[141:142]
	v_add_nc_u32_e32 v53, s12, v53
	v_add_f64_e32 v[47:48], v[93:94], v[129:130]
	v_add_f64_e32 v[49:50], v[95:96], v[117:118]
	v_add_co_u32 v101, vcc_lo, v0, v101
	v_add_f64_e32 v[57:58], v[103:104], v[65:66]
	v_add_f64_e32 v[59:60], v[105:106], v[51:52]
	;; [unrolled: 1-line block ×3, first 2 shown]
	v_lshlrev_b64_e32 v[113:114], 4, v[53:54]
	v_add_nc_u32_e32 v53, s12, v53
	v_add_f64_e32 v[73:74], v[77:78], v[85:86]
	v_add_f64_e32 v[75:76], v[75:76], v[87:88]
	;; [unrolled: 1-line block ×8, first 2 shown]
	v_lshlrev_b64_e32 v[21:22], 4, v[53:54]
	v_add_nc_u32_e32 v53, s12, v53
	s_wait_alu 0xfffd
	v_add_co_ci_u32_e32 v102, vcc_lo, v56, v102, vcc_lo
	v_add_co_u32 v1, vcc_lo, v0, v109
	s_delay_alu instid0(VALU_DEP_3)
	v_lshlrev_b64_e32 v[51:52], 4, v[53:54]
	v_add_nc_u32_e32 v53, s12, v53
	s_wait_alu 0xfffd
	v_add_co_ci_u32_e32 v2, vcc_lo, v56, v110, vcc_lo
	v_add_co_u32 v27, vcc_lo, v0, v113
	s_wait_alu 0xfffd
	v_add_co_ci_u32_e32 v28, vcc_lo, v56, v114, vcc_lo
	v_add_co_u32 v21, vcc_lo, v0, v21
	v_lshlrev_b64_e32 v[53:54], 4, v[53:54]
	s_wait_alu 0xfffd
	v_add_co_ci_u32_e32 v22, vcc_lo, v56, v22, vcc_lo
	v_add_co_u32 v51, vcc_lo, v0, v51
	s_wait_alu 0xfffd
	v_add_co_ci_u32_e32 v52, vcc_lo, v56, v52, vcc_lo
	v_add_co_u32 v53, vcc_lo, v0, v53
	s_wait_alu 0xfffd
	v_add_co_ci_u32_e32 v54, vcc_lo, v56, v54, vcc_lo
	s_clause 0xc
	global_store_b128 v[19:20], v[5:8], off
	global_store_b128 v[17:18], v[9:12], off
	;; [unrolled: 1-line block ×13, first 2 shown]
	s_nop 0
	s_sendmsg sendmsg(MSG_DEALLOC_VGPRS)
	s_endpgm
	.section	.rodata,"a",@progbits
	.p2align	6, 0x0
	.amdhsa_kernel fft_rtc_back_len169_factors_13_13_wgs_156_tpt_13_dp_op_CI_CI_sbrc_aligned_dirReg
		.amdhsa_group_segment_fixed_size 0
		.amdhsa_private_segment_fixed_size 0
		.amdhsa_kernarg_size 104
		.amdhsa_user_sgpr_count 2
		.amdhsa_user_sgpr_dispatch_ptr 0
		.amdhsa_user_sgpr_queue_ptr 0
		.amdhsa_user_sgpr_kernarg_segment_ptr 1
		.amdhsa_user_sgpr_dispatch_id 0
		.amdhsa_user_sgpr_private_segment_size 0
		.amdhsa_wavefront_size32 1
		.amdhsa_uses_dynamic_stack 0
		.amdhsa_enable_private_segment 0
		.amdhsa_system_sgpr_workgroup_id_x 1
		.amdhsa_system_sgpr_workgroup_id_y 0
		.amdhsa_system_sgpr_workgroup_id_z 0
		.amdhsa_system_sgpr_workgroup_info 0
		.amdhsa_system_vgpr_workitem_id 0
		.amdhsa_next_free_vgpr 253
		.amdhsa_next_free_sgpr 52
		.amdhsa_reserve_vcc 1
		.amdhsa_float_round_mode_32 0
		.amdhsa_float_round_mode_16_64 0
		.amdhsa_float_denorm_mode_32 3
		.amdhsa_float_denorm_mode_16_64 3
		.amdhsa_fp16_overflow 0
		.amdhsa_workgroup_processor_mode 1
		.amdhsa_memory_ordered 1
		.amdhsa_forward_progress 0
		.amdhsa_round_robin_scheduling 0
		.amdhsa_exception_fp_ieee_invalid_op 0
		.amdhsa_exception_fp_denorm_src 0
		.amdhsa_exception_fp_ieee_div_zero 0
		.amdhsa_exception_fp_ieee_overflow 0
		.amdhsa_exception_fp_ieee_underflow 0
		.amdhsa_exception_fp_ieee_inexact 0
		.amdhsa_exception_int_div_zero 0
	.end_amdhsa_kernel
	.text
.Lfunc_end0:
	.size	fft_rtc_back_len169_factors_13_13_wgs_156_tpt_13_dp_op_CI_CI_sbrc_aligned_dirReg, .Lfunc_end0-fft_rtc_back_len169_factors_13_13_wgs_156_tpt_13_dp_op_CI_CI_sbrc_aligned_dirReg
                                        ; -- End function
	.section	.AMDGPU.csdata,"",@progbits
; Kernel info:
; codeLenInByte = 10160
; NumSgprs: 54
; NumVgprs: 253
; ScratchSize: 0
; MemoryBound: 0
; FloatMode: 240
; IeeeMode: 1
; LDSByteSize: 0 bytes/workgroup (compile time only)
; SGPRBlocks: 6
; VGPRBlocks: 31
; NumSGPRsForWavesPerEU: 54
; NumVGPRsForWavesPerEU: 253
; Occupancy: 5
; WaveLimiterHint : 1
; COMPUTE_PGM_RSRC2:SCRATCH_EN: 0
; COMPUTE_PGM_RSRC2:USER_SGPR: 2
; COMPUTE_PGM_RSRC2:TRAP_HANDLER: 0
; COMPUTE_PGM_RSRC2:TGID_X_EN: 1
; COMPUTE_PGM_RSRC2:TGID_Y_EN: 0
; COMPUTE_PGM_RSRC2:TGID_Z_EN: 0
; COMPUTE_PGM_RSRC2:TIDIG_COMP_CNT: 0
	.text
	.p2alignl 7, 3214868480
	.fill 96, 4, 3214868480
	.type	__hip_cuid_5f5ab5613fb6ad0a,@object ; @__hip_cuid_5f5ab5613fb6ad0a
	.section	.bss,"aw",@nobits
	.globl	__hip_cuid_5f5ab5613fb6ad0a
__hip_cuid_5f5ab5613fb6ad0a:
	.byte	0                               ; 0x0
	.size	__hip_cuid_5f5ab5613fb6ad0a, 1

	.ident	"AMD clang version 19.0.0git (https://github.com/RadeonOpenCompute/llvm-project roc-6.4.0 25133 c7fe45cf4b819c5991fe208aaa96edf142730f1d)"
	.section	".note.GNU-stack","",@progbits
	.addrsig
	.addrsig_sym __hip_cuid_5f5ab5613fb6ad0a
	.amdgpu_metadata
---
amdhsa.kernels:
  - .args:
      - .actual_access:  read_only
        .address_space:  global
        .offset:         0
        .size:           8
        .value_kind:     global_buffer
      - .offset:         8
        .size:           8
        .value_kind:     by_value
      - .actual_access:  read_only
        .address_space:  global
        .offset:         16
        .size:           8
        .value_kind:     global_buffer
      - .actual_access:  read_only
        .address_space:  global
        .offset:         24
        .size:           8
        .value_kind:     global_buffer
      - .actual_access:  read_only
        .address_space:  global
        .offset:         32
        .size:           8
        .value_kind:     global_buffer
      - .offset:         40
        .size:           8
        .value_kind:     by_value
      - .actual_access:  read_only
        .address_space:  global
        .offset:         48
        .size:           8
        .value_kind:     global_buffer
      - .actual_access:  read_only
        .address_space:  global
        .offset:         56
        .size:           8
        .value_kind:     global_buffer
      - .offset:         64
        .size:           4
        .value_kind:     by_value
      - .actual_access:  read_only
        .address_space:  global
        .offset:         72
        .size:           8
        .value_kind:     global_buffer
      - .actual_access:  read_only
        .address_space:  global
        .offset:         80
        .size:           8
        .value_kind:     global_buffer
      - .actual_access:  read_only
        .address_space:  global
        .offset:         88
        .size:           8
        .value_kind:     global_buffer
      - .actual_access:  write_only
        .address_space:  global
        .offset:         96
        .size:           8
        .value_kind:     global_buffer
    .group_segment_fixed_size: 0
    .kernarg_segment_align: 8
    .kernarg_segment_size: 104
    .language:       OpenCL C
    .language_version:
      - 2
      - 0
    .max_flat_workgroup_size: 156
    .name:           fft_rtc_back_len169_factors_13_13_wgs_156_tpt_13_dp_op_CI_CI_sbrc_aligned_dirReg
    .private_segment_fixed_size: 0
    .sgpr_count:     54
    .sgpr_spill_count: 0
    .symbol:         fft_rtc_back_len169_factors_13_13_wgs_156_tpt_13_dp_op_CI_CI_sbrc_aligned_dirReg.kd
    .uniform_work_group_size: 1
    .uses_dynamic_stack: false
    .vgpr_count:     253
    .vgpr_spill_count: 0
    .wavefront_size: 32
    .workgroup_processor_mode: 1
amdhsa.target:   amdgcn-amd-amdhsa--gfx1201
amdhsa.version:
  - 1
  - 2
...

	.end_amdgpu_metadata
